;; amdgpu-corpus repo=ROCm/rocFFT kind=compiled arch=gfx906 opt=O3
	.text
	.amdgcn_target "amdgcn-amd-amdhsa--gfx906"
	.amdhsa_code_object_version 6
	.protected	bluestein_single_fwd_len50_dim1_dp_op_CI_CI ; -- Begin function bluestein_single_fwd_len50_dim1_dp_op_CI_CI
	.globl	bluestein_single_fwd_len50_dim1_dp_op_CI_CI
	.p2align	8
	.type	bluestein_single_fwd_len50_dim1_dp_op_CI_CI,@function
bluestein_single_fwd_len50_dim1_dp_op_CI_CI: ; @bluestein_single_fwd_len50_dim1_dp_op_CI_CI
; %bb.0:
	v_mul_u32_u24_e32 v1, 0x199a, v0
	s_load_dwordx4 s[0:3], s[4:5], 0x28
	v_lshrrev_b32_e32 v1, 16, v1
	v_mad_u64_u32 v[56:57], s[6:7], s6, 25, v[1:2]
	v_mov_b32_e32 v57, 0
	s_waitcnt lgkmcnt(0)
	v_cmp_gt_u64_e32 vcc, s[0:1], v[56:57]
	s_and_saveexec_b64 s[0:1], vcc
	s_cbranch_execz .LBB0_15
; %bb.1:
	s_mov_b32 s0, 0x51eb851f
	v_mul_hi_u32 v2, v56, s0
	s_load_dwordx2 s[12:13], s[4:5], 0x0
	s_load_dwordx2 s[6:7], s[4:5], 0x38
	v_mul_lo_u16_e32 v1, 10, v1
	v_sub_u16_e32 v62, v0, v1
	v_lshrrev_b32_e32 v2, 3, v2
	v_mul_lo_u32 v2, v2, 25
	v_cmp_gt_u16_e32 vcc, 5, v62
	v_lshlrev_b32_e32 v63, 4, v62
	v_or_b32_e32 v61, 40, v62
	v_sub_u32_e32 v0, v56, v2
	v_mul_u32_u24_e32 v64, 50, v0
	v_lshlrev_b32_e32 v65, 4, v64
	s_and_saveexec_b64 s[14:15], vcc
	s_cbranch_execz .LBB0_3
; %bb.2:
	s_load_dwordx2 s[0:1], s[4:5], 0x18
	v_mov_b32_e32 v82, 0xa0
	s_waitcnt lgkmcnt(0)
	s_load_dwordx4 s[8:11], s[0:1], 0x0
	s_waitcnt lgkmcnt(0)
	v_mad_u64_u32 v[0:1], s[0:1], s10, v56, 0
	v_mad_u64_u32 v[2:3], s[0:1], s8, v62, 0
	s_mul_i32 s10, s9, 0xa0
	v_mad_u64_u32 v[4:5], s[0:1], s11, v56, v[1:2]
	v_mad_u64_u32 v[5:6], s[0:1], s9, v62, v[3:4]
	v_mov_b32_e32 v1, v4
	v_lshlrev_b64 v[0:1], 4, v[0:1]
	v_mov_b32_e32 v3, v5
	v_mov_b32_e32 v6, s3
	v_lshlrev_b64 v[2:3], 4, v[2:3]
	v_add_co_u32_e64 v84, s[0:1], s2, v0
	v_addc_co_u32_e64 v85, s[0:1], v6, v1, s[0:1]
	v_add_co_u32_e64 v16, s[0:1], v84, v2
	v_addc_co_u32_e64 v17, s[0:1], v85, v3, s[0:1]
	s_mul_i32 s0, s9, 0x50
	s_mul_hi_u32 s3, s8, 0x50
	s_add_i32 s3, s3, s0
	s_mul_i32 s2, s8, 0x50
	v_mov_b32_e32 v0, s3
	v_add_co_u32_e64 v18, s[0:1], s2, v16
	v_addc_co_u32_e64 v19, s[0:1], v17, v0, s[0:1]
	global_load_dwordx4 v[0:3], v63, s[12:13]
	global_load_dwordx4 v[4:7], v63, s[12:13] offset:80
	global_load_dwordx4 v[8:11], v[16:17], off
	global_load_dwordx4 v[12:15], v[18:19], off
	v_mov_b32_e32 v16, s3
	v_add_co_u32_e64 v57, s[0:1], s2, v18
	v_addc_co_u32_e64 v58, s[0:1], v19, v16, s[0:1]
	v_mad_u64_u32 v[48:49], s[0:1], s8, v61, 0
	v_mov_b32_e32 v51, s3
	global_load_dwordx4 v[16:19], v63, s[12:13] offset:160
	global_load_dwordx4 v[20:23], v63, s[12:13] offset:240
	;; [unrolled: 1-line block ×6, first 2 shown]
	v_mad_u64_u32 v[49:50], s[0:1], s9, v61, v[49:50]
	v_add_co_u32_e64 v59, s[0:1], s2, v57
	global_load_dwordx4 v[40:43], v63, s[12:13] offset:640
	global_load_dwordx4 v[44:47], v63, s[12:13] offset:720
	v_lshlrev_b64 v[78:79], 4, v[48:49]
	v_addc_co_u32_e64 v60, s[0:1], v58, v51, s[0:1]
	global_load_dwordx4 v[48:51], v[57:58], off
	global_load_dwordx4 v[52:55], v[59:60], off
	v_mov_b32_e32 v67, s3
	v_add_co_u32_e64 v66, s[0:1], s2, v59
	v_addc_co_u32_e64 v67, s[0:1], v60, v67, s[0:1]
	v_mov_b32_e32 v68, s3
	v_add_co_u32_e64 v70, s[0:1], s2, v66
	v_addc_co_u32_e64 v71, s[0:1], v67, v68, s[0:1]
	global_load_dwordx4 v[57:60], v[66:67], off
	v_mov_b32_e32 v72, s3
	global_load_dwordx4 v[66:69], v[70:71], off
	v_add_co_u32_e64 v74, s[0:1], s2, v70
	v_addc_co_u32_e64 v75, s[0:1], v71, v72, s[0:1]
	v_mov_b32_e32 v76, s3
	v_add_co_u32_e64 v80, s[0:1], s2, v74
	v_addc_co_u32_e64 v81, s[0:1], v75, v76, s[0:1]
	v_mad_u64_u32 v[82:83], s[0:1], s8, v82, v[80:81]
	global_load_dwordx4 v[70:73], v[74:75], off
	v_add_co_u32_e64 v78, s[0:1], v84, v78
	global_load_dwordx4 v[74:77], v[80:81], off
	v_addc_co_u32_e64 v79, s[0:1], v85, v79, s[0:1]
	global_load_dwordx4 v[78:81], v[78:79], off
	v_add_u32_e32 v83, s10, v83
	global_load_dwordx4 v[82:85], v[82:83], off
	s_waitcnt vmcnt(17)
	v_mul_f64 v[86:87], v[10:11], v[2:3]
	v_mul_f64 v[2:3], v[8:9], v[2:3]
	s_waitcnt vmcnt(16)
	v_mul_f64 v[88:89], v[14:15], v[6:7]
	v_mul_f64 v[90:91], v[12:13], v[6:7]
	v_fma_f64 v[6:7], v[8:9], v[0:1], v[86:87]
	v_fma_f64 v[8:9], v[10:11], v[0:1], -v[2:3]
	v_fma_f64 v[0:1], v[12:13], v[4:5], v[88:89]
	v_fma_f64 v[2:3], v[14:15], v[4:5], -v[90:91]
	s_waitcnt vmcnt(7)
	v_mul_f64 v[92:93], v[50:51], v[18:19]
	v_mul_f64 v[18:19], v[48:49], v[18:19]
	s_waitcnt vmcnt(6)
	v_mul_f64 v[94:95], v[54:55], v[22:23]
	v_mul_f64 v[22:23], v[52:53], v[22:23]
	v_fma_f64 v[10:11], v[48:49], v[16:17], v[92:93]
	v_fma_f64 v[12:13], v[50:51], v[16:17], -v[18:19]
	v_fma_f64 v[14:15], v[52:53], v[20:21], v[94:95]
	v_fma_f64 v[16:17], v[54:55], v[20:21], -v[22:23]
	s_waitcnt vmcnt(5)
	v_mul_f64 v[4:5], v[59:60], v[26:27]
	v_mul_f64 v[18:19], v[57:58], v[26:27]
	s_waitcnt vmcnt(4)
	v_mul_f64 v[20:21], v[68:69], v[30:31]
	v_mul_f64 v[22:23], v[66:67], v[30:31]
	v_lshl_add_u32 v26, v62, 4, v65
	v_add_u32_e32 v48, v65, v63
	ds_write_b128 v26, v[6:9]
	ds_write_b128 v48, v[0:3] offset:80
	v_fma_f64 v[0:1], v[57:58], v[24:25], v[4:5]
	v_fma_f64 v[2:3], v[59:60], v[24:25], -v[18:19]
	v_fma_f64 v[4:5], v[66:67], v[28:29], v[20:21]
	v_fma_f64 v[6:7], v[68:69], v[28:29], -v[22:23]
	s_waitcnt vmcnt(3)
	v_mul_f64 v[8:9], v[72:73], v[34:35]
	v_mul_f64 v[20:21], v[70:71], v[34:35]
	s_waitcnt vmcnt(2)
	v_mul_f64 v[22:23], v[76:77], v[38:39]
	v_mul_f64 v[24:25], v[74:75], v[38:39]
	;; [unrolled: 3-line block ×4, first 2 shown]
	v_fma_f64 v[18:19], v[70:71], v[32:33], v[8:9]
	v_fma_f64 v[20:21], v[72:73], v[32:33], -v[20:21]
	v_fma_f64 v[22:23], v[74:75], v[36:37], v[22:23]
	v_fma_f64 v[24:25], v[76:77], v[36:37], -v[24:25]
	v_fma_f64 v[26:27], v[78:79], v[40:41], v[26:27]
	v_fma_f64 v[28:29], v[80:81], v[40:41], -v[28:29]
	v_fma_f64 v[30:31], v[82:83], v[44:45], v[30:31]
	v_fma_f64 v[32:33], v[84:85], v[44:45], -v[34:35]
	ds_write_b128 v48, v[10:13] offset:160
	ds_write_b128 v48, v[14:17] offset:240
	;; [unrolled: 1-line block ×8, first 2 shown]
.LBB0_3:
	s_or_b64 exec, exec, s[14:15]
	s_load_dwordx2 s[0:1], s[4:5], 0x20
	s_load_dwordx2 s[8:9], s[4:5], 0x8
	s_waitcnt lgkmcnt(0)
	s_barrier
	s_waitcnt lgkmcnt(0)
                                        ; implicit-def: $vgpr2_vgpr3
                                        ; implicit-def: $vgpr22_vgpr23
                                        ; implicit-def: $vgpr24_vgpr25
                                        ; implicit-def: $vgpr4_vgpr5
                                        ; implicit-def: $vgpr28_vgpr29
                                        ; implicit-def: $vgpr8_vgpr9
                                        ; implicit-def: $vgpr32_vgpr33
                                        ; implicit-def: $vgpr12_vgpr13
                                        ; implicit-def: $vgpr36_vgpr37
                                        ; implicit-def: $vgpr16_vgpr17
	s_and_saveexec_b64 s[2:3], vcc
	s_cbranch_execz .LBB0_5
; %bb.4:
	v_lshl_add_u32 v16, v64, 4, v63
	ds_read_b128 v[20:23], v16
	ds_read_b128 v[0:3], v16 offset:80
	ds_read_b128 v[24:27], v16 offset:160
	;; [unrolled: 1-line block ×9, first 2 shown]
.LBB0_5:
	s_or_b64 exec, exec, s[2:3]
	s_waitcnt lgkmcnt(3)
	v_add_f64 v[40:41], v[28:29], v[32:33]
	v_add_f64 v[42:43], v[20:21], v[24:25]
	s_waitcnt lgkmcnt(1)
	v_add_f64 v[44:45], v[26:27], -v[38:39]
	v_add_f64 v[52:53], v[24:25], v[36:37]
	s_mov_b32 s14, 0x134454ff
	s_mov_b32 s15, 0x3fee6f0e
	v_add_f64 v[46:47], v[30:31], -v[34:35]
	v_add_f64 v[48:49], v[24:25], -v[28:29]
	v_fma_f64 v[40:41], v[40:41], -0.5, v[20:21]
	v_add_f64 v[50:51], v[36:37], -v[32:33]
	v_add_f64 v[42:43], v[42:43], v[28:29]
	v_add_f64 v[59:60], v[22:23], v[26:27]
	v_fma_f64 v[20:21], v[52:53], -0.5, v[20:21]
	s_mov_b32 s4, 0x4755a5e
	s_mov_b32 s5, 0x3fe2cf23
	;; [unrolled: 1-line block ×3, first 2 shown]
	v_fma_f64 v[54:55], v[44:45], s[14:15], v[40:41]
	s_mov_b32 s16, s14
	v_add_f64 v[57:58], v[28:29], -v[24:25]
	v_add_f64 v[66:67], v[32:33], -v[36:37]
	v_add_f64 v[48:49], v[48:49], v[50:51]
	v_add_f64 v[42:43], v[42:43], v[32:33]
	;; [unrolled: 1-line block ×3, first 2 shown]
	v_fma_f64 v[68:69], v[46:47], s[16:17], v[20:21]
	v_fma_f64 v[50:51], v[46:47], s[4:5], v[54:55]
	v_add_f64 v[54:55], v[59:60], v[30:31]
	v_fma_f64 v[59:60], v[44:45], s[16:17], v[40:41]
	v_fma_f64 v[20:21], v[46:47], s[14:15], v[20:21]
	s_mov_b32 s10, 0x372fe950
	s_mov_b32 s11, 0x3fd3c6ef
	;; [unrolled: 1-line block ×4, first 2 shown]
	v_add_f64 v[40:41], v[42:43], v[36:37]
	v_fma_f64 v[42:43], v[48:49], s[10:11], v[50:51]
	v_fma_f64 v[50:51], v[52:53], -0.5, v[22:23]
	v_add_f64 v[24:25], v[24:25], -v[36:37]
	v_fma_f64 v[36:37], v[46:47], s[18:19], v[59:60]
	v_fma_f64 v[46:47], v[44:45], s[4:5], v[68:69]
	v_add_f64 v[52:53], v[57:58], v[66:67]
	v_fma_f64 v[20:21], v[44:45], s[18:19], v[20:21]
	v_add_f64 v[57:58], v[26:27], v[38:39]
	v_add_f64 v[54:55], v[54:55], v[34:35]
	v_add_f64 v[28:29], v[28:29], -v[32:33]
	v_fma_f64 v[59:60], v[24:25], s[16:17], v[50:51]
	v_add_f64 v[32:33], v[26:27], -v[30:31]
	v_add_f64 v[66:67], v[38:39], -v[34:35]
	v_fma_f64 v[44:45], v[52:53], s[10:11], v[46:47]
	v_fma_f64 v[46:47], v[52:53], s[10:11], v[20:21]
	v_fma_f64 v[22:23], v[57:58], -0.5, v[22:23]
	v_add_f64 v[52:53], v[0:1], v[4:5]
	v_fma_f64 v[36:37], v[48:49], s[10:11], v[36:37]
	v_add_f64 v[48:49], v[54:55], v[38:39]
	v_fma_f64 v[20:21], v[28:29], s[18:19], v[59:60]
	v_add_f64 v[54:55], v[8:9], v[12:13]
	v_add_f64 v[32:33], v[32:33], v[66:67]
	v_fma_f64 v[50:51], v[24:25], s[14:15], v[50:51]
	v_fma_f64 v[57:58], v[28:29], s[14:15], v[22:23]
	v_add_f64 v[26:27], v[30:31], -v[26:27]
	v_add_f64 v[30:31], v[34:35], -v[38:39]
	v_fma_f64 v[22:23], v[28:29], s[16:17], v[22:23]
	v_add_f64 v[34:35], v[52:53], v[8:9]
	v_fma_f64 v[59:60], v[54:55], -0.5, v[0:1]
	s_waitcnt lgkmcnt(0)
	v_add_f64 v[66:67], v[6:7], -v[18:19]
	v_fma_f64 v[38:39], v[32:33], s[10:11], v[20:21]
	v_fma_f64 v[20:21], v[28:29], s[4:5], v[50:51]
	;; [unrolled: 1-line block ×3, first 2 shown]
	v_add_f64 v[26:27], v[26:27], v[30:31]
	v_fma_f64 v[22:23], v[24:25], s[4:5], v[22:23]
	v_add_f64 v[24:25], v[4:5], v[16:17]
	v_add_f64 v[30:31], v[34:35], v[12:13]
	v_fma_f64 v[34:35], v[66:67], s[14:15], v[59:60]
	v_add_f64 v[57:58], v[10:11], -v[14:15]
	v_add_f64 v[68:69], v[4:5], -v[8:9]
	;; [unrolled: 1-line block ×3, first 2 shown]
	v_fma_f64 v[52:53], v[32:33], s[10:11], v[20:21]
	v_fma_f64 v[50:51], v[26:27], s[10:11], v[28:29]
	v_fma_f64 v[20:21], v[24:25], -0.5, v[0:1]
	v_add_f64 v[0:1], v[30:31], v[16:17]
	v_add_f64 v[24:25], v[10:11], v[14:15]
	;; [unrolled: 1-line block ×3, first 2 shown]
	v_fma_f64 v[54:55], v[26:27], s[10:11], v[22:23]
	v_fma_f64 v[22:23], v[57:58], s[4:5], v[34:35]
	v_add_f64 v[26:27], v[68:69], v[70:71]
	v_fma_f64 v[28:29], v[66:67], s[16:17], v[59:60]
	v_fma_f64 v[32:33], v[57:58], s[16:17], v[20:21]
	v_add_f64 v[34:35], v[8:9], -v[4:5]
	v_add_f64 v[59:60], v[12:13], -v[16:17]
	v_add_f64 v[68:69], v[2:3], v[6:7]
	v_fma_f64 v[24:25], v[24:25], -0.5, v[2:3]
	v_add_f64 v[4:5], v[4:5], -v[16:17]
	v_add_f64 v[8:9], v[8:9], -v[12:13]
	v_fma_f64 v[2:3], v[30:31], -0.5, v[2:3]
	v_fma_f64 v[12:13], v[26:27], s[10:11], v[22:23]
	v_fma_f64 v[16:17], v[57:58], s[18:19], v[28:29]
	;; [unrolled: 1-line block ×3, first 2 shown]
	v_add_f64 v[28:29], v[34:35], v[59:60]
	v_fma_f64 v[20:21], v[57:58], s[14:15], v[20:21]
	v_add_f64 v[30:31], v[68:69], v[10:11]
	v_fma_f64 v[32:33], v[4:5], s[16:17], v[24:25]
	v_fma_f64 v[34:35], v[8:9], s[14:15], v[2:3]
	v_add_f64 v[57:58], v[10:11], -v[6:7]
	v_add_f64 v[59:60], v[14:15], -v[18:19]
	;; [unrolled: 1-line block ×4, first 2 shown]
	v_fma_f64 v[24:25], v[4:5], s[14:15], v[24:25]
	v_fma_f64 v[2:3], v[8:9], s[16:17], v[2:3]
	;; [unrolled: 1-line block ×3, first 2 shown]
	v_add_f64 v[14:15], v[30:31], v[14:15]
	v_fma_f64 v[30:31], v[4:5], s[18:19], v[34:35]
	v_add_f64 v[34:35], v[57:58], v[59:60]
	v_fma_f64 v[32:33], v[8:9], s[18:19], v[32:33]
	;; [unrolled: 2-line block ×3, first 2 shown]
	v_fma_f64 v[4:5], v[4:5], s[4:5], v[2:3]
	v_fma_f64 v[16:17], v[26:27], s[10:11], v[16:17]
	;; [unrolled: 1-line block ×5, first 2 shown]
	v_add_f64 v[2:3], v[14:15], v[18:19]
	s_mov_b32 s2, 0x9b97f4a8
	v_fma_f64 v[18:19], v[6:7], s[10:11], v[8:9]
	v_fma_f64 v[8:9], v[34:35], s[10:11], v[4:5]
	s_mov_b32 s3, 0x3fe9e377
	v_fma_f64 v[14:15], v[6:7], s[10:11], v[32:33]
	v_mul_f64 v[4:5], v[12:13], s[2:3]
	v_mul_f64 v[6:7], v[22:23], s[14:15]
	;; [unrolled: 1-line block ×8, first 2 shown]
	v_fma_f64 v[4:5], v[14:15], s[4:5], v[4:5]
	v_fma_f64 v[6:7], v[10:11], s[10:11], v[6:7]
	v_fma_f64 v[8:9], v[8:9], s[14:15], -v[24:25]
	v_fma_f64 v[10:11], v[18:19], s[4:5], -v[26:27]
	v_fma_f64 v[12:13], v[14:15], s[2:3], v[12:13]
	v_fma_f64 v[14:15], v[22:23], s[10:11], v[28:29]
	v_fma_f64 v[57:58], v[20:21], s[16:17], -v[30:31]
	v_fma_f64 v[59:60], v[16:17], s[18:19], -v[32:33]
	v_add_f64 v[32:33], v[40:41], -v[0:1]
	v_add_f64 v[16:17], v[42:43], -v[4:5]
	;; [unrolled: 1-line block ×10, first 2 shown]
	v_mul_lo_u16_e32 v66, 10, v62
	s_barrier
	s_and_saveexec_b64 s[2:3], vcc
	s_cbranch_execz .LBB0_7
; %bb.6:
	v_add_f64 v[2:3], v[48:49], v[2:3]
	v_add_f64 v[0:1], v[40:41], v[0:1]
	;; [unrolled: 1-line block ×10, first 2 shown]
	v_add_lshl_u32 v4, v64, v66, 4
	ds_write_b128 v4, v[0:3]
	ds_write_b128 v4, v[67:70] offset:16
	ds_write_b128 v4, v[12:15] offset:32
	;; [unrolled: 1-line block ×9, first 2 shown]
.LBB0_7:
	s_or_b64 exec, exec, s[2:3]
	v_add_lshl_u32 v58, v64, v62, 4
	v_lshlrev_b32_e32 v57, 6, v62
	s_load_dwordx4 s[0:3], s[0:1], 0x0
	s_waitcnt lgkmcnt(0)
	s_barrier
	ds_read_b128 v[48:51], v58
	ds_read_b128 v[36:39], v58 offset:160
	ds_read_b128 v[40:43], v58 offset:320
	;; [unrolled: 1-line block ×4, first 2 shown]
	global_load_dwordx4 v[0:3], v57, s[8:9] offset:48
	global_load_dwordx4 v[4:7], v57, s[8:9] offset:32
	global_load_dwordx4 v[8:11], v57, s[8:9] offset:16
	global_load_dwordx4 v[12:15], v57, s[8:9]
	v_lshl_add_u32 v57, v62, 4, v65
	s_waitcnt vmcnt(0) lgkmcnt(3)
	v_mul_f64 v[59:60], v[38:39], v[14:15]
	v_fma_f64 v[59:60], v[36:37], v[12:13], -v[59:60]
	v_mul_f64 v[36:37], v[36:37], v[14:15]
	v_fma_f64 v[67:68], v[38:39], v[12:13], v[36:37]
	s_waitcnt lgkmcnt(2)
	v_mul_f64 v[36:37], v[42:43], v[10:11]
	v_fma_f64 v[69:70], v[40:41], v[8:9], -v[36:37]
	v_mul_f64 v[36:37], v[40:41], v[10:11]
	v_fma_f64 v[71:72], v[42:43], v[8:9], v[36:37]
	s_waitcnt lgkmcnt(1)
	v_mul_f64 v[36:37], v[46:47], v[6:7]
	v_fma_f64 v[42:43], v[44:45], v[4:5], -v[36:37]
	v_mul_f64 v[36:37], v[44:45], v[6:7]
	v_add_f64 v[44:45], v[59:60], -v[69:70]
	v_add_f64 v[38:39], v[69:70], v[42:43]
	v_fma_f64 v[73:74], v[46:47], v[4:5], v[36:37]
	s_waitcnt lgkmcnt(0)
	v_mul_f64 v[36:37], v[54:55], v[2:3]
	v_fma_f64 v[38:39], v[38:39], -0.5, v[48:49]
	v_add_f64 v[75:76], v[71:72], -v[73:74]
	v_fma_f64 v[46:47], v[52:53], v[0:1], -v[36:37]
	v_mul_f64 v[36:37], v[52:53], v[2:3]
	v_add_f64 v[77:78], v[46:47], -v[42:43]
	v_fma_f64 v[54:55], v[54:55], v[0:1], v[36:37]
	v_add_f64 v[36:37], v[48:49], v[59:60]
	v_add_f64 v[79:80], v[42:43], -v[46:47]
	v_add_f64 v[77:78], v[44:45], v[77:78]
	v_add_f64 v[52:53], v[67:68], -v[54:55]
	v_add_f64 v[36:37], v[36:37], v[69:70]
	v_fma_f64 v[40:41], v[52:53], s[14:15], v[38:39]
	v_fma_f64 v[38:39], v[52:53], s[16:17], v[38:39]
	v_add_f64 v[36:37], v[36:37], v[42:43]
	v_fma_f64 v[40:41], v[75:76], s[4:5], v[40:41]
	v_fma_f64 v[38:39], v[75:76], s[18:19], v[38:39]
	v_add_f64 v[36:37], v[36:37], v[46:47]
	v_fma_f64 v[44:45], v[77:78], s[10:11], v[40:41]
	v_fma_f64 v[40:41], v[77:78], s[10:11], v[38:39]
	v_add_f64 v[38:39], v[59:60], v[46:47]
	v_add_f64 v[77:78], v[69:70], -v[59:60]
	v_add_f64 v[59:60], v[59:60], -v[46:47]
	;; [unrolled: 1-line block ×3, first 2 shown]
	v_fma_f64 v[38:39], v[38:39], -0.5, v[48:49]
	v_add_f64 v[77:78], v[77:78], v[79:80]
	v_fma_f64 v[48:49], v[75:76], s[16:17], v[38:39]
	v_fma_f64 v[38:39], v[75:76], s[14:15], v[38:39]
	v_add_f64 v[75:76], v[71:72], v[73:74]
	v_fma_f64 v[48:49], v[52:53], s[4:5], v[48:49]
	v_fma_f64 v[38:39], v[52:53], s[18:19], v[38:39]
	v_fma_f64 v[75:76], v[75:76], -0.5, v[50:51]
	v_fma_f64 v[48:49], v[77:78], s[10:11], v[48:49]
	v_fma_f64 v[52:53], v[77:78], s[10:11], v[38:39]
	;; [unrolled: 1-line block ×3, first 2 shown]
	v_add_f64 v[38:39], v[50:51], v[67:68]
	v_add_f64 v[77:78], v[54:55], -v[73:74]
	v_fma_f64 v[42:43], v[69:70], s[18:19], v[46:47]
	v_add_f64 v[46:47], v[67:68], -v[71:72]
	v_add_f64 v[38:39], v[38:39], v[71:72]
	v_add_f64 v[77:78], v[46:47], v[77:78]
	;; [unrolled: 1-line block ×3, first 2 shown]
	v_fma_f64 v[46:47], v[77:78], s[10:11], v[42:43]
	v_fma_f64 v[42:43], v[59:60], s[14:15], v[75:76]
	v_add_f64 v[75:76], v[67:68], v[54:55]
	v_add_f64 v[38:39], v[38:39], v[54:55]
	v_add_f64 v[67:68], v[71:72], -v[67:68]
	v_add_f64 v[54:55], v[73:74], -v[54:55]
	v_fma_f64 v[42:43], v[69:70], s[4:5], v[42:43]
	v_fma_f64 v[75:76], v[75:76], -0.5, v[50:51]
	v_add_f64 v[54:55], v[67:68], v[54:55]
	v_fma_f64 v[42:43], v[77:78], s[10:11], v[42:43]
	v_fma_f64 v[50:51], v[69:70], s[14:15], v[75:76]
	;; [unrolled: 1-line block ×7, first 2 shown]
	ds_write_b128 v57, v[36:39]
	ds_write_b128 v57, v[44:47] offset:160
	ds_write_b128 v57, v[48:51] offset:320
	;; [unrolled: 1-line block ×4, first 2 shown]
	s_waitcnt lgkmcnt(0)
	s_barrier
	s_and_saveexec_b64 s[4:5], vcc
	s_cbranch_execz .LBB0_9
; %bb.8:
	global_load_dwordx4 v[71:74], v63, s[12:13] offset:800
	ds_read_b128 v[67:70], v57
	s_add_u32 s8, s12, 0x320
	s_addc_u32 s9, s13, 0
	s_waitcnt vmcnt(0) lgkmcnt(0)
	v_mul_f64 v[59:60], v[69:70], v[73:74]
	v_fma_f64 v[75:76], v[67:68], v[71:72], -v[59:60]
	v_mul_f64 v[59:60], v[67:68], v[73:74]
	v_fma_f64 v[77:78], v[69:70], v[71:72], v[59:60]
	global_load_dwordx4 v[71:74], v63, s[8:9] offset:80
	ds_read_b128 v[67:70], v57 offset:80
	ds_write_b128 v57, v[75:78]
	s_waitcnt vmcnt(0) lgkmcnt(1)
	v_mul_f64 v[59:60], v[69:70], v[73:74]
	v_fma_f64 v[75:76], v[67:68], v[71:72], -v[59:60]
	v_mul_f64 v[59:60], v[67:68], v[73:74]
	v_fma_f64 v[77:78], v[69:70], v[71:72], v[59:60]
	global_load_dwordx4 v[71:74], v63, s[8:9] offset:160
	ds_read_b128 v[67:70], v57 offset:160
	ds_write_b128 v57, v[75:78] offset:80
	s_waitcnt vmcnt(0) lgkmcnt(1)
	v_mul_f64 v[59:60], v[69:70], v[73:74]
	v_fma_f64 v[75:76], v[67:68], v[71:72], -v[59:60]
	v_mul_f64 v[59:60], v[67:68], v[73:74]
	v_fma_f64 v[77:78], v[69:70], v[71:72], v[59:60]
	global_load_dwordx4 v[71:74], v63, s[8:9] offset:240
	ds_read_b128 v[67:70], v57 offset:240
	ds_write_b128 v57, v[75:78] offset:160
	;; [unrolled: 8-line block ×8, first 2 shown]
	s_waitcnt vmcnt(0) lgkmcnt(1)
	v_mul_f64 v[59:60], v[69:70], v[73:74]
	v_fma_f64 v[75:76], v[67:68], v[71:72], -v[59:60]
	v_mul_f64 v[59:60], v[67:68], v[73:74]
	v_fma_f64 v[77:78], v[69:70], v[71:72], v[59:60]
	ds_write_b128 v57, v[75:78] offset:720
.LBB0_9:
	s_or_b64 exec, exec, s[4:5]
	s_waitcnt lgkmcnt(0)
	s_barrier
	s_and_saveexec_b64 s[4:5], vcc
	s_cbranch_execz .LBB0_11
; %bb.10:
	ds_read_b128 v[36:39], v57
	ds_read_b128 v[44:47], v57 offset:80
	ds_read_b128 v[48:51], v57 offset:160
	;; [unrolled: 1-line block ×9, first 2 shown]
.LBB0_11:
	s_or_b64 exec, exec, s[4:5]
	s_waitcnt lgkmcnt(0)
	s_barrier
	s_and_saveexec_b64 s[4:5], vcc
	s_cbranch_execz .LBB0_13
; %bb.12:
	v_add_f64 v[59:60], v[42:43], v[18:19]
	v_add_f64 v[71:72], v[48:49], -v[20:21]
	s_mov_b32 s10, 0x134454ff
	s_mov_b32 s11, 0xbfee6f0e
	v_add_f64 v[67:68], v[50:51], -v[42:43]
	v_add_f64 v[69:70], v[22:23], -v[18:19]
	;; [unrolled: 1-line block ×4, first 2 shown]
	v_fma_f64 v[59:60], v[59:60], -0.5, v[38:39]
	v_add_f64 v[77:78], v[28:29], -v[24:25]
	s_mov_b32 s8, 0x4755a5e
	s_mov_b32 s9, 0xbfe2cf23
	v_add_f64 v[87:88], v[54:55], -v[34:35]
	v_add_f64 v[89:90], v[30:31], -v[26:27]
	v_add_f64 v[91:92], v[50:51], v[22:23]
	v_add_f64 v[67:68], v[67:68], v[69:70]
	v_fma_f64 v[85:86], v[71:72], s[10:11], v[59:60]
	v_add_f64 v[69:70], v[75:76], v[77:78]
	v_add_f64 v[93:94], v[18:19], -v[22:23]
	v_add_f64 v[95:96], v[32:33], -v[52:53]
	;; [unrolled: 1-line block ×3, first 2 shown]
	v_add_f64 v[87:88], v[87:88], v[89:90]
	v_add_f64 v[89:90], v[42:43], -v[50:51]
	v_fma_f64 v[91:92], v[91:92], -0.5, v[38:39]
	v_fma_f64 v[75:76], v[73:74], s[8:9], v[85:86]
	v_add_f64 v[85:86], v[34:35], v[26:27]
	v_add_f64 v[99:100], v[52:53], -v[28:29]
	s_mov_b32 s17, 0x3fee6f0e
	s_mov_b32 s16, s10
	v_add_f64 v[77:78], v[52:53], v[28:29]
	v_add_f64 v[89:90], v[89:90], v[93:94]
	v_fma_f64 v[93:94], v[73:74], s[16:17], v[91:92]
	v_add_f64 v[95:96], v[95:96], v[97:98]
	v_fma_f64 v[85:86], v[85:86], -0.5, v[46:47]
	v_add_f64 v[105:106], v[54:55], v[30:31]
	v_add_f64 v[107:108], v[32:33], -v[24:25]
	v_add_f64 v[79:80], v[32:33], v[24:25]
	v_add_f64 v[83:84], v[34:35], -v[26:27]
	v_fma_f64 v[77:78], v[77:78], -0.5, v[44:45]
	v_fma_f64 v[91:92], v[73:74], s[10:11], v[91:92]
	v_fma_f64 v[93:94], v[71:72], s[8:9], v[93:94]
	;; [unrolled: 1-line block ×3, first 2 shown]
	v_fma_f64 v[105:106], v[105:106], -0.5, v[46:47]
	s_mov_b32 s18, 0x372fe950
	s_mov_b32 s15, 0x3fe2cf23
	;; [unrolled: 1-line block ×4, first 2 shown]
	v_add_f64 v[81:82], v[54:55], -v[30:31]
	v_add_f64 v[101:102], v[34:35], -v[54:55]
	v_fma_f64 v[97:98], v[107:108], s[8:9], v[97:98]
	v_add_f64 v[103:104], v[26:27], -v[30:31]
	v_fma_f64 v[79:80], v[79:80], -0.5, v[44:45]
	v_fma_f64 v[109:110], v[83:84], s[10:11], v[77:78]
	v_fma_f64 v[77:78], v[83:84], s[16:17], v[77:78]
	v_fma_f64 v[91:92], v[71:72], s[14:15], v[91:92]
	v_fma_f64 v[59:60], v[71:72], s[16:17], v[59:60]
	v_fma_f64 v[71:72], v[89:90], s[18:19], v[93:94]
	v_fma_f64 v[93:94], v[87:88], s[18:19], v[97:98]
	v_fma_f64 v[97:98], v[107:108], s[16:17], v[105:106]
	v_add_f64 v[101:102], v[101:102], v[103:104]
	v_fma_f64 v[103:104], v[81:82], s[16:17], v[79:80]
	v_fma_f64 v[109:110], v[81:82], s[14:15], v[109:110]
	;; [unrolled: 1-line block ×13, first 2 shown]
	v_add_f64 v[83:84], v[48:49], -v[40:41]
	v_fma_f64 v[95:96], v[101:102], s[18:19], v[97:98]
	v_add_f64 v[97:98], v[20:21], -v[16:17]
	v_fma_f64 v[79:80], v[107:108], s[14:15], v[79:80]
	v_add_f64 v[46:47], v[46:47], v[54:55]
	s_mov_b32 s20, 0x9b97f4a8
	s_mov_b32 s21, 0xbfe9e377
	v_fma_f64 v[103:104], v[69:70], s[18:19], v[103:104]
	v_mul_f64 v[109:110], v[93:94], s[20:21]
	v_fma_f64 v[81:82], v[99:100], s[14:15], v[105:106]
	v_add_f64 v[54:55], v[83:84], v[97:98]
	v_add_f64 v[83:84], v[48:49], v[20:21]
	;; [unrolled: 1-line block ×3, first 2 shown]
	v_fma_f64 v[69:70], v[69:70], s[18:19], v[73:74]
	v_fma_f64 v[73:74], v[87:88], s[18:19], v[79:80]
	v_add_f64 v[38:39], v[38:39], v[50:51]
	v_add_f64 v[44:45], v[44:45], v[52:53]
	v_mul_f64 v[52:53], v[93:94], s[8:9]
	v_add_f64 v[87:88], v[42:43], -v[18:19]
	v_add_f64 v[93:94], v[40:41], -v[48:49]
	;; [unrolled: 1-line block ×3, first 2 shown]
	v_fma_f64 v[83:84], v[83:84], -0.5, v[36:37]
	v_add_f64 v[48:49], v[36:37], v[48:49]
	v_fma_f64 v[79:80], v[99:100], -0.5, v[36:37]
	v_add_f64 v[50:51], v[50:51], -v[22:23]
	v_add_f64 v[38:39], v[38:39], v[42:43]
	v_add_f64 v[34:35], v[46:47], v[34:35]
	s_mov_b32 s23, 0xbfd3c6ef
	v_add_f64 v[42:43], v[93:94], v[97:98]
	v_fma_f64 v[93:94], v[87:88], s[10:11], v[83:84]
	v_fma_f64 v[83:84], v[87:88], s[16:17], v[83:84]
	s_mov_b32 s22, s18
	v_add_f64 v[48:49], v[48:49], v[40:41]
	v_add_f64 v[32:33], v[44:45], v[32:33]
	v_fma_f64 v[75:76], v[67:68], s[18:19], v[75:76]
	v_fma_f64 v[81:82], v[101:102], s[18:19], v[81:82]
	v_fma_f64 v[59:60], v[67:68], s[18:19], v[59:60]
	v_mul_f64 v[67:68], v[95:96], s[22:23]
	v_mul_f64 v[95:96], v[95:96], s[10:11]
	v_fma_f64 v[46:47], v[50:51], s[16:17], v[79:80]
	v_fma_f64 v[93:94], v[50:51], s[14:15], v[93:94]
	;; [unrolled: 1-line block ×4, first 2 shown]
	v_add_f64 v[26:27], v[34:35], v[26:27]
	v_mul_f64 v[79:80], v[69:70], s[14:15]
	v_add_f64 v[38:39], v[38:39], v[18:19]
	v_add_f64 v[16:17], v[48:49], v[16:17]
	;; [unrolled: 1-line block ×3, first 2 shown]
	v_fma_f64 v[67:68], v[91:92], s[16:17], v[67:68]
	v_fma_f64 v[99:100], v[103:104], s[20:21], v[52:53]
	v_mul_f64 v[52:53], v[81:82], s[18:19]
	v_fma_f64 v[91:92], v[91:92], s[22:23], v[95:96]
	v_fma_f64 v[34:35], v[87:88], s[14:15], v[46:47]
	v_add_f64 v[95:96], v[26:27], v[30:31]
	v_fma_f64 v[30:31], v[87:88], s[8:9], v[50:51]
	v_mul_f64 v[32:33], v[73:74], s[8:9]
	v_mul_f64 v[26:27], v[81:82], s[10:11]
	s_mov_b32 s21, 0x3fe9e377
	v_fma_f64 v[46:47], v[73:74], s[20:21], v[79:80]
	v_add_f64 v[79:80], v[38:39], v[22:23]
	v_add_f64 v[20:21], v[16:17], v[20:21]
	;; [unrolled: 1-line block ×3, first 2 shown]
	v_fma_f64 v[52:53], v[77:78], s[16:17], v[52:53]
	v_fma_f64 v[97:98], v[54:55], s[18:19], v[34:35]
	;; [unrolled: 1-line block ×8, first 2 shown]
	v_add_f64 v[40:41], v[71:72], -v[67:68]
	v_add_f64 v[44:45], v[71:72], v[67:68]
	v_add_f64 v[69:70], v[79:80], v[95:96]
	v_add_f64 v[67:68], v[20:21], v[24:25]
	v_add_f64 v[18:19], v[89:90], -v[52:53]
	v_add_f64 v[48:49], v[89:90], v[52:53]
	v_add_f64 v[52:53], v[59:60], v[46:47]
	;; [unrolled: 1-line block ×3, first 2 shown]
	v_add_f64 v[22:23], v[59:60], -v[46:47]
	v_add_f64 v[46:47], v[42:43], v[73:74]
	v_add_f64 v[16:17], v[42:43], -v[73:74]
	v_add_f64 v[42:43], v[81:82], v[91:92]
	v_add_f64 v[30:31], v[75:76], v[85:86]
	;; [unrolled: 1-line block ×3, first 2 shown]
	v_add_f64 v[26:27], v[79:80], -v[95:96]
	v_add_f64 v[24:25], v[20:21], -v[24:25]
	;; [unrolled: 1-line block ×3, first 2 shown]
	v_lshl_add_u32 v32, v66, 4, v65
	v_add_f64 v[36:37], v[75:76], -v[85:86]
	v_add_f64 v[34:35], v[97:98], -v[99:100]
	;; [unrolled: 1-line block ×3, first 2 shown]
	ds_write_b128 v32, v[67:70]
	ds_write_b128 v32, v[50:53] offset:16
	ds_write_b128 v32, v[46:49] offset:32
	;; [unrolled: 1-line block ×9, first 2 shown]
.LBB0_13:
	s_or_b64 exec, exec, s[4:5]
	s_waitcnt lgkmcnt(0)
	s_barrier
	ds_read_b128 v[16:19], v58 offset:320
	ds_read_b128 v[20:23], v58 offset:480
	;; [unrolled: 1-line block ×4, first 2 shown]
	s_mov_b32 s4, 0x134454ff
	s_waitcnt lgkmcnt(3)
	v_mul_f64 v[32:33], v[10:11], v[18:19]
	s_waitcnt lgkmcnt(2)
	v_mul_f64 v[34:35], v[6:7], v[22:23]
	;; [unrolled: 2-line block ×3, first 2 shown]
	v_mul_f64 v[38:39], v[14:15], v[24:25]
	v_mul_f64 v[10:11], v[10:11], v[16:17]
	;; [unrolled: 1-line block ×3, first 2 shown]
	s_mov_b32 s5, 0xbfee6f0e
	s_mov_b32 s8, 0x4755a5e
	v_fma_f64 v[32:33], v[8:9], v[16:17], v[32:33]
	ds_read_b128 v[14:17], v58
	s_waitcnt lgkmcnt(1)
	v_mul_f64 v[40:41], v[2:3], v[28:29]
	v_fma_f64 v[34:35], v[4:5], v[20:21], v[34:35]
	v_mul_f64 v[2:3], v[2:3], v[30:31]
	v_fma_f64 v[20:21], v[12:13], v[24:25], v[36:37]
	v_fma_f64 v[12:13], v[12:13], v[26:27], -v[38:39]
	v_fma_f64 v[8:9], v[8:9], v[18:19], -v[10:11]
	;; [unrolled: 1-line block ×3, first 2 shown]
	s_mov_b32 s9, 0xbfe2cf23
	v_fma_f64 v[24:25], v[0:1], v[30:31], -v[40:41]
	v_add_f64 v[26:27], v[32:33], v[34:35]
	v_fma_f64 v[2:3], v[0:1], v[28:29], v[2:3]
	s_waitcnt lgkmcnt(0)
	v_add_f64 v[0:1], v[14:15], v[20:21]
	v_add_f64 v[22:23], v[20:21], -v[32:33]
	s_mov_b32 s15, 0x3fee6f0e
	v_add_f64 v[18:19], v[8:9], -v[6:7]
	s_mov_b32 s14, s4
	v_add_f64 v[10:11], v[12:13], -v[24:25]
	v_fma_f64 v[4:5], v[26:27], -0.5, v[14:15]
	v_add_f64 v[28:29], v[20:21], v[2:3]
	v_add_f64 v[0:1], v[0:1], v[32:33]
	v_add_f64 v[26:27], v[2:3], -v[34:35]
	s_mov_b32 s10, 0x372fe950
	v_add_f64 v[42:43], v[16:17], v[12:13]
	s_mov_b32 s11, 0x3fd3c6ef
	v_add_f64 v[40:41], v[34:35], -v[2:3]
	v_fma_f64 v[30:31], v[10:11], s[4:5], v[4:5]
	v_fma_f64 v[14:15], v[28:29], -0.5, v[14:15]
	v_add_f64 v[0:1], v[0:1], v[34:35]
	v_add_f64 v[28:29], v[8:9], v[6:7]
	;; [unrolled: 1-line block ×3, first 2 shown]
	v_fma_f64 v[36:37], v[10:11], s[14:15], v[4:5]
	s_mov_b32 s17, 0x3fe2cf23
	s_mov_b32 s16, s8
	v_fma_f64 v[26:27], v[18:19], s[8:9], v[30:31]
	v_add_f64 v[30:31], v[12:13], v[24:25]
	v_fma_f64 v[38:39], v[18:19], s[14:15], v[14:15]
	v_add_f64 v[0:1], v[0:1], v[2:3]
	v_fma_f64 v[28:29], v[28:29], -0.5, v[16:17]
	v_add_f64 v[2:3], v[20:21], -v[2:3]
	v_fma_f64 v[14:15], v[18:19], s[4:5], v[14:15]
	v_fma_f64 v[4:5], v[22:23], s[10:11], v[26:27]
	v_add_f64 v[26:27], v[32:33], -v[20:21]
	v_add_f64 v[32:33], v[32:33], -v[34:35]
	v_fma_f64 v[16:17], v[30:31], -0.5, v[16:17]
	v_fma_f64 v[20:21], v[18:19], s[16:17], v[36:37]
	v_add_f64 v[18:19], v[42:43], v[8:9]
	v_fma_f64 v[30:31], v[10:11], s[8:9], v[38:39]
	v_fma_f64 v[34:35], v[2:3], s[14:15], v[28:29]
	v_add_f64 v[36:37], v[12:13], -v[8:9]
	v_add_f64 v[38:39], v[24:25], -v[6:7]
	v_add_f64 v[26:27], v[26:27], v[40:41]
	v_fma_f64 v[40:41], v[32:33], s[4:5], v[16:17]
	v_add_f64 v[8:9], v[8:9], -v[12:13]
	v_add_f64 v[12:13], v[6:7], -v[24:25]
	v_fma_f64 v[16:17], v[32:33], s[14:15], v[16:17]
	v_fma_f64 v[28:29], v[2:3], s[4:5], v[28:29]
	v_add_f64 v[6:7], v[18:19], v[6:7]
	v_fma_f64 v[10:11], v[10:11], s[16:17], v[14:15]
	v_fma_f64 v[14:15], v[32:33], s[16:17], v[34:35]
	v_add_f64 v[34:35], v[36:37], v[38:39]
	v_fma_f64 v[18:19], v[2:3], s[16:17], v[40:41]
	v_add_f64 v[36:37], v[8:9], v[12:13]
	v_fma_f64 v[38:39], v[2:3], s[8:9], v[16:17]
	v_fma_f64 v[28:29], v[32:33], s[8:9], v[28:29]
	v_add_f64 v[2:3], v[6:7], v[24:25]
	v_fma_f64 v[12:13], v[26:27], s[10:11], v[30:31]
	v_fma_f64 v[16:17], v[26:27], s[10:11], v[10:11]
	;; [unrolled: 1-line block ×7, first 2 shown]
	ds_write_b128 v57, v[0:3]
	ds_write_b128 v57, v[4:7] offset:160
	ds_write_b128 v57, v[12:15] offset:320
	;; [unrolled: 1-line block ×4, first 2 shown]
	s_waitcnt lgkmcnt(0)
	s_barrier
	s_and_b64 exec, exec, vcc
	s_cbranch_execz .LBB0_15
; %bb.14:
	global_load_dwordx4 v[0:3], v63, s[12:13]
	global_load_dwordx4 v[4:7], v63, s[12:13] offset:80
	global_load_dwordx4 v[8:11], v63, s[12:13] offset:160
	;; [unrolled: 1-line block ×9, first 2 shown]
	v_mad_u64_u32 v[75:76], s[4:5], s2, v56, 0
	v_mad_u64_u32 v[77:78], s[8:9], s0, v62, 0
	v_mov_b32_e32 v82, s7
	s_mul_i32 s7, s1, 0x50
	s_mul_hi_u32 s8, s0, 0x50
	s_add_i32 s7, s8, s7
	v_mad_u64_u32 v[79:80], s[8:9], s3, v56, v[76:77]
	v_lshl_add_u32 v97, v64, 4, v63
	s_mul_i32 s2, s0, 0x50
	v_mad_u64_u32 v[80:81], s[8:9], s1, v62, v[78:79]
	v_mov_b32_e32 v76, v79
	v_lshlrev_b64 v[75:76], 4, v[75:76]
	v_mov_b32_e32 v78, v80
	v_lshlrev_b64 v[77:78], 4, v[77:78]
	v_add_co_u32_e32 v98, vcc, s6, v75
	v_addc_co_u32_e32 v99, vcc, v82, v76, vcc
	v_add_co_u32_e32 v75, vcc, v98, v77
	ds_read_b128 v[40:43], v57
	ds_read_b128 v[44:47], v97 offset:80
	v_addc_co_u32_e32 v76, vcc, v99, v78, vcc
	v_mov_b32_e32 v83, s7
	v_add_co_u32_e32 v77, vcc, s2, v75
	v_addc_co_u32_e32 v78, vcc, v76, v83, vcc
	v_mov_b32_e32 v84, s7
	v_add_co_u32_e32 v79, vcc, s2, v77
	v_addc_co_u32_e32 v80, vcc, v78, v84, vcc
	ds_read_b128 v[48:51], v97 offset:160
	ds_read_b128 v[52:55], v97 offset:240
	;; [unrolled: 1-line block ×6, first 2 shown]
	s_mov_b32 s4, 0x47ae147b
	s_mov_b32 s5, 0x3f947ae1
	v_mov_b32_e32 v56, s7
	v_add_co_u32_e32 v81, vcc, s2, v79
	v_addc_co_u32_e32 v82, vcc, v80, v56, vcc
	v_mov_b32_e32 v62, s7
	s_waitcnt vmcnt(9) lgkmcnt(7)
	v_mul_f64 v[83:84], v[42:43], v[2:3]
	v_mul_f64 v[2:3], v[40:41], v[2:3]
	s_waitcnt vmcnt(8) lgkmcnt(6)
	v_mul_f64 v[85:86], v[46:47], v[6:7]
	v_mul_f64 v[6:7], v[44:45], v[6:7]
	;; [unrolled: 3-line block ×6, first 2 shown]
	v_fma_f64 v[40:41], v[40:41], v[0:1], v[83:84]
	v_fma_f64 v[2:3], v[0:1], v[42:43], -v[2:3]
	v_fma_f64 v[42:43], v[44:45], v[4:5], v[85:86]
	v_fma_f64 v[6:7], v[4:5], v[46:47], -v[6:7]
	;; [unrolled: 2-line block ×5, first 2 shown]
	s_waitcnt vmcnt(3) lgkmcnt(1)
	v_mul_f64 v[95:96], v[69:70], v[26:27]
	v_mul_f64 v[26:27], v[67:68], v[26:27]
	;; [unrolled: 1-line block ×4, first 2 shown]
	v_fma_f64 v[40:41], v[63:64], v[20:21], v[93:94]
	v_fma_f64 v[20:21], v[20:21], v[65:66], -v[22:23]
	v_mul_f64 v[4:5], v[42:43], s[4:5]
	v_mul_f64 v[6:7], v[6:7], s[4:5]
	v_mul_f64 v[8:9], v[44:45], s[4:5]
	v_mul_f64 v[10:11], v[10:11], s[4:5]
	v_mul_f64 v[12:13], v[46:47], s[4:5]
	v_mul_f64 v[14:15], v[14:15], s[4:5]
	v_mul_f64 v[16:17], v[48:49], s[4:5]
	v_mul_f64 v[18:19], v[18:19], s[4:5]
	global_store_dwordx4 v[75:76], v[0:3], off
	global_store_dwordx4 v[77:78], v[4:7], off
	;; [unrolled: 1-line block ×4, first 2 shown]
	v_mul_f64 v[0:1], v[40:41], s[4:5]
	v_mul_f64 v[2:3], v[20:21], s[4:5]
	v_fma_f64 v[6:7], v[67:68], v[24:25], v[95:96]
	v_fma_f64 v[8:9], v[24:25], v[69:70], -v[26:27]
	s_waitcnt vmcnt(6) lgkmcnt(0)
	v_mul_f64 v[10:11], v[73:74], v[30:31]
	v_mul_f64 v[12:13], v[71:72], v[30:31]
	v_add_co_u32_e32 v4, vcc, s2, v81
	v_addc_co_u32_e32 v5, vcc, v82, v62, vcc
	global_store_dwordx4 v[4:5], v[16:19], off
	v_mov_b32_e32 v14, s7
	v_add_co_u32_e32 v4, vcc, s2, v4
	v_addc_co_u32_e32 v5, vcc, v5, v14, vcc
	global_store_dwordx4 v[4:5], v[0:3], off
	v_mov_b32_e32 v24, s7
	v_mul_f64 v[0:1], v[6:7], s[4:5]
	v_mul_f64 v[2:3], v[8:9], s[4:5]
	v_fma_f64 v[6:7], v[71:72], v[28:29], v[10:11]
	v_fma_f64 v[8:9], v[28:29], v[73:74], -v[12:13]
	v_add_co_u32_e32 v12, vcc, s2, v4
	v_addc_co_u32_e32 v13, vcc, v5, v14, vcc
	v_mad_u64_u32 v[18:19], s[6:7], s0, v61, 0
	global_store_dwordx4 v[12:13], v[0:3], off
	ds_read_b128 v[0:3], v97 offset:640
	v_mul_f64 v[4:5], v[6:7], s[4:5]
	v_mul_f64 v[6:7], v[8:9], s[4:5]
	ds_read_b128 v[8:11], v97 offset:720
	v_add_co_u32_e32 v12, vcc, s2, v12
	s_waitcnt vmcnt(8) lgkmcnt(1)
	v_mul_f64 v[14:15], v[2:3], v[34:35]
	v_mul_f64 v[16:17], v[0:1], v[34:35]
	s_waitcnt vmcnt(7) lgkmcnt(0)
	v_mul_f64 v[20:21], v[10:11], v[38:39]
	v_mul_f64 v[22:23], v[8:9], v[38:39]
	v_addc_co_u32_e32 v13, vcc, v13, v24, vcc
	global_store_dwordx4 v[12:13], v[4:7], off
	v_fma_f64 v[0:1], v[0:1], v[32:33], v[14:15]
	v_fma_f64 v[2:3], v[32:33], v[2:3], -v[16:17]
	v_fma_f64 v[8:9], v[8:9], v[36:37], v[20:21]
	v_fma_f64 v[10:11], v[36:37], v[10:11], -v[22:23]
	v_mov_b32_e32 v14, v19
	v_mad_u64_u32 v[14:15], s[2:3], s1, v61, v[14:15]
	v_mul_f64 v[0:1], v[0:1], s[4:5]
	v_mul_f64 v[2:3], v[2:3], s[4:5]
	;; [unrolled: 1-line block ×4, first 2 shown]
	v_mov_b32_e32 v8, 0xa0
	v_mov_b32_e32 v19, v14
	v_mad_u64_u32 v[8:9], s[2:3], s0, v8, v[12:13]
	v_lshlrev_b64 v[14:15], 4, v[18:19]
	s_mul_i32 s0, s1, 0xa0
	v_add_co_u32_e32 v10, vcc, v98, v14
	v_addc_co_u32_e32 v11, vcc, v99, v15, vcc
	v_add_u32_e32 v9, s0, v9
	global_store_dwordx4 v[10:11], v[0:3], off
	global_store_dwordx4 v[8:9], v[4:7], off
.LBB0_15:
	s_endpgm
	.section	.rodata,"a",@progbits
	.p2align	6, 0x0
	.amdhsa_kernel bluestein_single_fwd_len50_dim1_dp_op_CI_CI
		.amdhsa_group_segment_fixed_size 20000
		.amdhsa_private_segment_fixed_size 0
		.amdhsa_kernarg_size 104
		.amdhsa_user_sgpr_count 6
		.amdhsa_user_sgpr_private_segment_buffer 1
		.amdhsa_user_sgpr_dispatch_ptr 0
		.amdhsa_user_sgpr_queue_ptr 0
		.amdhsa_user_sgpr_kernarg_segment_ptr 1
		.amdhsa_user_sgpr_dispatch_id 0
		.amdhsa_user_sgpr_flat_scratch_init 0
		.amdhsa_user_sgpr_private_segment_size 0
		.amdhsa_uses_dynamic_stack 0
		.amdhsa_system_sgpr_private_segment_wavefront_offset 0
		.amdhsa_system_sgpr_workgroup_id_x 1
		.amdhsa_system_sgpr_workgroup_id_y 0
		.amdhsa_system_sgpr_workgroup_id_z 0
		.amdhsa_system_sgpr_workgroup_info 0
		.amdhsa_system_vgpr_workitem_id 0
		.amdhsa_next_free_vgpr 111
		.amdhsa_next_free_sgpr 24
		.amdhsa_reserve_vcc 1
		.amdhsa_reserve_flat_scratch 0
		.amdhsa_float_round_mode_32 0
		.amdhsa_float_round_mode_16_64 0
		.amdhsa_float_denorm_mode_32 3
		.amdhsa_float_denorm_mode_16_64 3
		.amdhsa_dx10_clamp 1
		.amdhsa_ieee_mode 1
		.amdhsa_fp16_overflow 0
		.amdhsa_exception_fp_ieee_invalid_op 0
		.amdhsa_exception_fp_denorm_src 0
		.amdhsa_exception_fp_ieee_div_zero 0
		.amdhsa_exception_fp_ieee_overflow 0
		.amdhsa_exception_fp_ieee_underflow 0
		.amdhsa_exception_fp_ieee_inexact 0
		.amdhsa_exception_int_div_zero 0
	.end_amdhsa_kernel
	.text
.Lfunc_end0:
	.size	bluestein_single_fwd_len50_dim1_dp_op_CI_CI, .Lfunc_end0-bluestein_single_fwd_len50_dim1_dp_op_CI_CI
                                        ; -- End function
	.section	.AMDGPU.csdata,"",@progbits
; Kernel info:
; codeLenInByte = 7304
; NumSgprs: 28
; NumVgprs: 111
; ScratchSize: 0
; MemoryBound: 0
; FloatMode: 240
; IeeeMode: 1
; LDSByteSize: 20000 bytes/workgroup (compile time only)
; SGPRBlocks: 3
; VGPRBlocks: 27
; NumSGPRsForWavesPerEU: 28
; NumVGPRsForWavesPerEU: 111
; Occupancy: 2
; WaveLimiterHint : 1
; COMPUTE_PGM_RSRC2:SCRATCH_EN: 0
; COMPUTE_PGM_RSRC2:USER_SGPR: 6
; COMPUTE_PGM_RSRC2:TRAP_HANDLER: 0
; COMPUTE_PGM_RSRC2:TGID_X_EN: 1
; COMPUTE_PGM_RSRC2:TGID_Y_EN: 0
; COMPUTE_PGM_RSRC2:TGID_Z_EN: 0
; COMPUTE_PGM_RSRC2:TIDIG_COMP_CNT: 0
	.type	__hip_cuid_b0f2409511806d11,@object ; @__hip_cuid_b0f2409511806d11
	.section	.bss,"aw",@nobits
	.globl	__hip_cuid_b0f2409511806d11
__hip_cuid_b0f2409511806d11:
	.byte	0                               ; 0x0
	.size	__hip_cuid_b0f2409511806d11, 1

	.ident	"AMD clang version 19.0.0git (https://github.com/RadeonOpenCompute/llvm-project roc-6.4.0 25133 c7fe45cf4b819c5991fe208aaa96edf142730f1d)"
	.section	".note.GNU-stack","",@progbits
	.addrsig
	.addrsig_sym __hip_cuid_b0f2409511806d11
	.amdgpu_metadata
---
amdhsa.kernels:
  - .args:
      - .actual_access:  read_only
        .address_space:  global
        .offset:         0
        .size:           8
        .value_kind:     global_buffer
      - .actual_access:  read_only
        .address_space:  global
        .offset:         8
        .size:           8
        .value_kind:     global_buffer
      - .actual_access:  read_only
        .address_space:  global
        .offset:         16
        .size:           8
        .value_kind:     global_buffer
      - .actual_access:  read_only
        .address_space:  global
        .offset:         24
        .size:           8
        .value_kind:     global_buffer
      - .actual_access:  read_only
        .address_space:  global
        .offset:         32
        .size:           8
        .value_kind:     global_buffer
      - .offset:         40
        .size:           8
        .value_kind:     by_value
      - .address_space:  global
        .offset:         48
        .size:           8
        .value_kind:     global_buffer
      - .address_space:  global
        .offset:         56
        .size:           8
        .value_kind:     global_buffer
      - .address_space:  global
        .offset:         64
        .size:           8
        .value_kind:     global_buffer
      - .address_space:  global
        .offset:         72
        .size:           8
        .value_kind:     global_buffer
      - .offset:         80
        .size:           4
        .value_kind:     by_value
      - .address_space:  global
        .offset:         88
        .size:           8
        .value_kind:     global_buffer
      - .address_space:  global
        .offset:         96
        .size:           8
        .value_kind:     global_buffer
    .group_segment_fixed_size: 20000
    .kernarg_segment_align: 8
    .kernarg_segment_size: 104
    .language:       OpenCL C
    .language_version:
      - 2
      - 0
    .max_flat_workgroup_size: 250
    .name:           bluestein_single_fwd_len50_dim1_dp_op_CI_CI
    .private_segment_fixed_size: 0
    .sgpr_count:     28
    .sgpr_spill_count: 0
    .symbol:         bluestein_single_fwd_len50_dim1_dp_op_CI_CI.kd
    .uniform_work_group_size: 1
    .uses_dynamic_stack: false
    .vgpr_count:     111
    .vgpr_spill_count: 0
    .wavefront_size: 64
amdhsa.target:   amdgcn-amd-amdhsa--gfx906
amdhsa.version:
  - 1
  - 2
...

	.end_amdgpu_metadata
